;; amdgpu-corpus repo=LLNL/RAJAPerf kind=compiled arch=gfx1250 opt=O3
	.amdgcn_target "amdgcn-amd-amdhsa--gfx1250"
	.amdhsa_code_object_version 6
	.section	.text._ZN8rajaperf5basic14mat_mat_sharedILl16EEEvlPdS2_S2_,"axG",@progbits,_ZN8rajaperf5basic14mat_mat_sharedILl16EEEvlPdS2_S2_,comdat
	.protected	_ZN8rajaperf5basic14mat_mat_sharedILl16EEEvlPdS2_S2_ ; -- Begin function _ZN8rajaperf5basic14mat_mat_sharedILl16EEEvlPdS2_S2_
	.globl	_ZN8rajaperf5basic14mat_mat_sharedILl16EEEvlPdS2_S2_
	.p2align	8
	.type	_ZN8rajaperf5basic14mat_mat_sharedILl16EEEvlPdS2_S2_,@function
_ZN8rajaperf5basic14mat_mat_sharedILl16EEEvlPdS2_S2_: ; @_ZN8rajaperf5basic14mat_mat_sharedILl16EEEvlPdS2_S2_
; %bb.0:
	s_load_b256 s[4:11], s[0:1], 0x0
	s_bfe_u32 s2, ttmp6, 0x4000c
	s_bfe_u32 s3, ttmp6, 0x40010
	v_and_b32_e32 v2, 0x3ff, v0
	v_mov_b32_e32 v3, 0
	s_add_co_i32 s2, s2, 1
	s_add_co_i32 s3, s3, 1
	s_wait_xcnt 0x0
	s_and_b32 s0, ttmp6, 15
	s_bfe_u32 s12, ttmp6, 0x40004
	s_mul_i32 s2, ttmp9, s2
	s_mul_i32 s3, ttmp7, s3
	s_getreg_b32 s13, hwreg(HW_REG_IB_STS2, 6, 4)
	v_bfe_u32 v0, v0, 10, 10
	s_add_co_i32 s0, s0, s2
	s_add_co_i32 s12, s12, s3
	v_dual_mov_b32 v1, v3 :: v_dual_lshlrev_b32 v4, 3, v2
	s_mov_b32 s1, 0
	s_cmp_eq_u32 s13, 0
	v_mov_b64_e32 v[8:9], 0
	s_wait_kmcnt 0x0
	v_cmp_gt_i64_e64 s14, s[4:5], 0
	s_mov_b32 s3, s1
	s_cselect_b32 s2, ttmp7, s12
	s_cselect_b32 s0, ttmp9, s0
	v_lshl_add_u32 v12, v0, 7, v4
	v_lshl_add_u64 v[4:5], s[2:3], 4, v[0:1]
	v_lshl_add_u64 v[6:7], s[0:1], 4, v[2:3]
	s_and_b32 vcc_lo, exec_lo, s14
	ds_store_b64 v12, v[8:9] offset:4096
	s_cbranch_vccnz .LBB0_2
; %bb.1:
	v_lshl_add_u64 v[8:9], s[2:3], 4, v[0:1]
	v_lshl_add_u64 v[10:11], s[0:1], 4, v[2:3]
	s_mov_b32 s2, s1
	v_add_nc_u32_e32 v16, 0x1000, v12
	s_and_not1_b32 vcc_lo, exec_lo, s2
	s_cbranch_vccz .LBB0_3
	s_branch .LBB0_10
.LBB0_2:
                                        ; implicit-def: $vgpr8_vgpr9
                                        ; implicit-def: $vgpr10_vgpr11
	v_add_nc_u32_e32 v16, 0x1000, v12
.LBB0_3:
	v_mul_u64_e32 v[8:9], s[4:5], v[0:1]
	v_mul_u64_e32 v[10:11], s[4:5], v[4:5]
	s_lshl_b64 s[0:1], s[0:1], 7
	v_dual_mov_b32 v13, 0 :: v_dual_lshlrev_b32 v12, 3, v2
	v_lshlrev_b32_e32 v17, 7, v0
	s_add_nc_u64 s[2:3], s[4:5], 15
	v_cmp_gt_u64_e32 vcc_lo, s[4:5], v[4:5]
	s_delay_alu instid0(VALU_DEP_3) | instskip(SKIP_1) | instid1(VALU_DEP_1)
	v_add_nc_u32_e32 v18, 0x800, v12
	s_lshr_b64 s[2:3], s[2:3], 4
	v_dual_add_nc_u32 v19, v17, v12 :: v_dual_add_nc_u32 v20, v18, v17
	v_lshl_add_u64 v[8:9], v[8:9], 3, s[0:1]
	v_lshl_add_u64 v[10:11], v[10:11], 3, s[8:9]
	v_cmp_gt_u64_e64 s0, s[4:5], v[6:7]
	s_lshl_b64 s[8:9], s[4:5], 7
	v_add_nc_u64_e32 v[14:15], v[8:9], v[12:13]
	v_add_nc_u64_e32 v[8:9], v[10:11], v[12:13]
	s_delay_alu instid0(VALU_DEP_2)
	v_add_nc_u64_e32 v[10:11], s[10:11], v[14:15]
	s_branch .LBB0_5
.LBB0_4:                                ;   in Loop: Header=BB0_5 Depth=1
	s_wait_xcnt 0x0
	s_or_b32 exec_lo, exec_lo, s1
	s_wait_loadcnt 0x0
	ds_store_b64 v20, v[12:13]
	s_wait_dscnt 0x0
	s_barrier_signal -1
	s_barrier_wait -1
	ds_load_b64 v[30:31], v16
	ds_load_b128 v[12:15], v17
	ds_load_2addr_b64 v[22:25], v18 offset1:16
	v_add_nc_u64_e32 v[8:9], 0x80, v[8:9]
	v_add_nc_u64_e32 v[2:3], 16, v[2:3]
	;; [unrolled: 1-line block ×4, first 2 shown]
	s_add_nc_u64 s[2:3], s[2:3], -1
	s_delay_alu instid0(SALU_CYCLE_1) | instskip(SKIP_2) | instid1(VALU_DEP_1)
	s_cmp_eq_u64 s[2:3], 0
	s_wait_dscnt 0x0
	v_fmac_f64_e32 v[30:31], v[12:13], v[22:23]
	v_fmac_f64_e32 v[30:31], v[14:15], v[24:25]
	ds_load_2addr_b64 v[12:15], v18 offset0:32 offset1:48
	ds_load_b128 v[22:25], v17 offset:16
	ds_load_b128 v[26:29], v17 offset:32
	s_wait_dscnt 0x1
	v_fmac_f64_e32 v[30:31], v[22:23], v[12:13]
	s_delay_alu instid0(VALU_DEP_1) | instskip(SKIP_3) | instid1(VALU_DEP_1)
	v_fmac_f64_e32 v[30:31], v[24:25], v[14:15]
	ds_load_2addr_b64 v[12:15], v18 offset0:64 offset1:80
	s_wait_dscnt 0x0
	v_fmac_f64_e32 v[30:31], v[26:27], v[12:13]
	v_fmac_f64_e32 v[30:31], v[28:29], v[14:15]
	ds_load_2addr_b64 v[12:15], v18 offset0:96 offset1:112
	ds_load_b128 v[22:25], v17 offset:48
	ds_load_b128 v[26:29], v17 offset:64
	s_wait_dscnt 0x1
	v_fmac_f64_e32 v[30:31], v[22:23], v[12:13]
	s_delay_alu instid0(VALU_DEP_1) | instskip(SKIP_3) | instid1(VALU_DEP_1)
	v_fmac_f64_e32 v[30:31], v[24:25], v[14:15]
	ds_load_2addr_b64 v[12:15], v18 offset0:128 offset1:144
	;; [unrolled: 11-line block ×3, first 2 shown]
	s_wait_dscnt 0x0
	v_fmac_f64_e32 v[30:31], v[26:27], v[12:13]
	v_fmac_f64_e32 v[30:31], v[28:29], v[14:15]
	ds_load_b128 v[12:15], v17 offset:112
	ds_load_2addr_b64 v[22:25], v18 offset0:224 offset1:240
	s_wait_dscnt 0x0
	v_fmac_f64_e32 v[30:31], v[12:13], v[22:23]
	s_delay_alu instid0(VALU_DEP_1)
	v_fmac_f64_e32 v[30:31], v[14:15], v[24:25]
	ds_store_b64 v16, v[30:31]
	s_wait_dscnt 0x0
	s_barrier_signal -1
	s_barrier_wait -1
	s_cbranch_scc1 .LBB0_9
.LBB0_5:                                ; =>This Inner Loop Header: Depth=1
	v_cmp_gt_i64_e64 s1, s[4:5], v[2:3]
	v_mov_b64_e32 v[12:13], 0
	v_mov_b64_e32 v[14:15], 0
	s_and_b32 s10, s1, vcc_lo
	s_delay_alu instid0(SALU_CYCLE_1)
	s_and_saveexec_b32 s1, s10
	s_cbranch_execz .LBB0_7
; %bb.6:                                ;   in Loop: Header=BB0_5 Depth=1
	global_load_b64 v[14:15], v[8:9], off
.LBB0_7:                                ;   in Loop: Header=BB0_5 Depth=1
	s_wait_xcnt 0x0
	s_or_b32 exec_lo, exec_lo, s1
	v_cmp_gt_i64_e64 s1, s[4:5], v[0:1]
	s_wait_loadcnt 0x0
	ds_store_b64 v19, v[14:15]
	s_and_b32 s10, s1, s0
	s_delay_alu instid0(SALU_CYCLE_1)
	s_and_saveexec_b32 s1, s10
	s_cbranch_execz .LBB0_4
; %bb.8:                                ;   in Loop: Header=BB0_5 Depth=1
	global_load_b64 v[12:13], v[10:11], off
	s_branch .LBB0_4
.LBB0_9:
	v_mov_b64_e32 v[8:9], v[4:5]
	v_mov_b64_e32 v[10:11], v[6:7]
.LBB0_10:
	s_delay_alu instid0(VALU_DEP_1) | instskip(SKIP_1) | instid1(VALU_DEP_1)
	v_max_i64 v[0:1], v[8:9], v[10:11]
	s_mov_b32 s0, exec_lo
	v_cmpx_gt_i64_e64 s[4:5], v[0:1]
	s_cbranch_execnz .LBB0_12
; %bb.11:
	s_endpgm
.LBB0_12:
	v_mul_u64_e32 v[0:1], s[4:5], v[8:9]
	ds_load_b64 v[2:3], v16
	v_lshl_add_u64 v[4:5], v[10:11], 3, s[6:7]
	s_delay_alu instid0(VALU_DEP_1)
	v_lshl_add_u64 v[0:1], v[0:1], 3, v[4:5]
	s_wait_dscnt 0x0
	global_store_b64 v[0:1], v[2:3], off
	s_endpgm
	.section	.rodata,"a",@progbits
	.p2align	6, 0x0
	.amdhsa_kernel _ZN8rajaperf5basic14mat_mat_sharedILl16EEEvlPdS2_S2_
		.amdhsa_group_segment_fixed_size 6144
		.amdhsa_private_segment_fixed_size 0
		.amdhsa_kernarg_size 32
		.amdhsa_user_sgpr_count 2
		.amdhsa_user_sgpr_dispatch_ptr 0
		.amdhsa_user_sgpr_queue_ptr 0
		.amdhsa_user_sgpr_kernarg_segment_ptr 1
		.amdhsa_user_sgpr_dispatch_id 0
		.amdhsa_user_sgpr_kernarg_preload_length 0
		.amdhsa_user_sgpr_kernarg_preload_offset 0
		.amdhsa_user_sgpr_private_segment_size 0
		.amdhsa_wavefront_size32 1
		.amdhsa_uses_dynamic_stack 0
		.amdhsa_enable_private_segment 0
		.amdhsa_system_sgpr_workgroup_id_x 1
		.amdhsa_system_sgpr_workgroup_id_y 1
		.amdhsa_system_sgpr_workgroup_id_z 0
		.amdhsa_system_sgpr_workgroup_info 0
		.amdhsa_system_vgpr_workitem_id 1
		.amdhsa_next_free_vgpr 32
		.amdhsa_next_free_sgpr 15
		.amdhsa_named_barrier_count 0
		.amdhsa_reserve_vcc 1
		.amdhsa_float_round_mode_32 0
		.amdhsa_float_round_mode_16_64 0
		.amdhsa_float_denorm_mode_32 3
		.amdhsa_float_denorm_mode_16_64 3
		.amdhsa_fp16_overflow 0
		.amdhsa_memory_ordered 1
		.amdhsa_forward_progress 1
		.amdhsa_inst_pref_size 7
		.amdhsa_round_robin_scheduling 0
		.amdhsa_exception_fp_ieee_invalid_op 0
		.amdhsa_exception_fp_denorm_src 0
		.amdhsa_exception_fp_ieee_div_zero 0
		.amdhsa_exception_fp_ieee_overflow 0
		.amdhsa_exception_fp_ieee_underflow 0
		.amdhsa_exception_fp_ieee_inexact 0
		.amdhsa_exception_int_div_zero 0
	.end_amdhsa_kernel
	.section	.text._ZN8rajaperf5basic14mat_mat_sharedILl16EEEvlPdS2_S2_,"axG",@progbits,_ZN8rajaperf5basic14mat_mat_sharedILl16EEEvlPdS2_S2_,comdat
.Lfunc_end0:
	.size	_ZN8rajaperf5basic14mat_mat_sharedILl16EEEvlPdS2_S2_, .Lfunc_end0-_ZN8rajaperf5basic14mat_mat_sharedILl16EEEvlPdS2_S2_
                                        ; -- End function
	.set _ZN8rajaperf5basic14mat_mat_sharedILl16EEEvlPdS2_S2_.num_vgpr, 32
	.set _ZN8rajaperf5basic14mat_mat_sharedILl16EEEvlPdS2_S2_.num_agpr, 0
	.set _ZN8rajaperf5basic14mat_mat_sharedILl16EEEvlPdS2_S2_.numbered_sgpr, 15
	.set _ZN8rajaperf5basic14mat_mat_sharedILl16EEEvlPdS2_S2_.num_named_barrier, 0
	.set _ZN8rajaperf5basic14mat_mat_sharedILl16EEEvlPdS2_S2_.private_seg_size, 0
	.set _ZN8rajaperf5basic14mat_mat_sharedILl16EEEvlPdS2_S2_.uses_vcc, 1
	.set _ZN8rajaperf5basic14mat_mat_sharedILl16EEEvlPdS2_S2_.uses_flat_scratch, 0
	.set _ZN8rajaperf5basic14mat_mat_sharedILl16EEEvlPdS2_S2_.has_dyn_sized_stack, 0
	.set _ZN8rajaperf5basic14mat_mat_sharedILl16EEEvlPdS2_S2_.has_recursion, 0
	.set _ZN8rajaperf5basic14mat_mat_sharedILl16EEEvlPdS2_S2_.has_indirect_call, 0
	.section	.AMDGPU.csdata,"",@progbits
; Kernel info:
; codeLenInByte = 860
; TotalNumSgprs: 17
; NumVgprs: 32
; ScratchSize: 0
; MemoryBound: 0
; FloatMode: 240
; IeeeMode: 1
; LDSByteSize: 6144 bytes/workgroup (compile time only)
; SGPRBlocks: 0
; VGPRBlocks: 1
; NumSGPRsForWavesPerEU: 17
; NumVGPRsForWavesPerEU: 32
; NamedBarCnt: 0
; Occupancy: 16
; WaveLimiterHint : 0
; COMPUTE_PGM_RSRC2:SCRATCH_EN: 0
; COMPUTE_PGM_RSRC2:USER_SGPR: 2
; COMPUTE_PGM_RSRC2:TRAP_HANDLER: 0
; COMPUTE_PGM_RSRC2:TGID_X_EN: 1
; COMPUTE_PGM_RSRC2:TGID_Y_EN: 1
; COMPUTE_PGM_RSRC2:TGID_Z_EN: 0
; COMPUTE_PGM_RSRC2:TIDIG_COMP_CNT: 1
	.section	.text._ZN8rajaperf10lambda_hipILm256EZNS_5basic14MAT_MAT_SHARED17runHipVariantImplILm256EEEvNS_9VariantIDEEUlvE_EEvT0_,"axG",@progbits,_ZN8rajaperf10lambda_hipILm256EZNS_5basic14MAT_MAT_SHARED17runHipVariantImplILm256EEEvNS_9VariantIDEEUlvE_EEvT0_,comdat
	.protected	_ZN8rajaperf10lambda_hipILm256EZNS_5basic14MAT_MAT_SHARED17runHipVariantImplILm256EEEvNS_9VariantIDEEUlvE_EEvT0_ ; -- Begin function _ZN8rajaperf10lambda_hipILm256EZNS_5basic14MAT_MAT_SHARED17runHipVariantImplILm256EEEvNS_9VariantIDEEUlvE_EEvT0_
	.globl	_ZN8rajaperf10lambda_hipILm256EZNS_5basic14MAT_MAT_SHARED17runHipVariantImplILm256EEEvNS_9VariantIDEEUlvE_EEvT0_
	.p2align	8
	.type	_ZN8rajaperf10lambda_hipILm256EZNS_5basic14MAT_MAT_SHARED17runHipVariantImplILm256EEEvNS_9VariantIDEEUlvE_EEvT0_,@function
_ZN8rajaperf10lambda_hipILm256EZNS_5basic14MAT_MAT_SHARED17runHipVariantImplILm256EEEvNS_9VariantIDEEUlvE_EEvT0_: ; @_ZN8rajaperf10lambda_hipILm256EZNS_5basic14MAT_MAT_SHARED17runHipVariantImplILm256EEEvNS_9VariantIDEEUlvE_EEvT0_
; %bb.0:
	s_load_b64 s[4:5], s[0:1], 0x28
	s_bfe_u32 s2, ttmp6, 0x40010
	s_bfe_u32 s6, ttmp6, 0x40004
	s_add_co_i32 s2, s2, 1
	s_mov_b32 s13, 0
	s_mul_i32 s3, ttmp7, s2
	s_getreg_b32 s2, hwreg(HW_REG_IB_STS2, 6, 4)
	s_add_co_i32 s6, s6, s3
	s_cmp_eq_u32 s2, 0
	s_mov_b32 s15, s13
	s_cselect_b32 s14, ttmp7, s6
	s_wait_kmcnt 0x0
	v_cmp_le_i64_e64 s3, s[4:5], s[14:15]
	s_and_b32 vcc_lo, exec_lo, s3
	s_cbranch_vccnz .LBB1_20
; %bb.1:
	s_load_b64 s[4:5], s[0:1], 0x20
	s_bfe_u32 s3, ttmp6, 0x4000c
	s_and_b32 s6, ttmp6, 15
	s_add_co_i32 s3, s3, 1
	s_delay_alu instid0(SALU_CYCLE_1) | instskip(NEXT) | instid1(SALU_CYCLE_1)
	s_mul_i32 s3, ttmp9, s3
	s_add_co_i32 s6, s6, s3
	s_cmp_eq_u32 s2, 0
	s_cselect_b32 s12, ttmp9, s6
	s_wait_kmcnt 0x0
	v_cmp_le_i64_e64 s2, s[4:5], s[12:13]
	s_and_b32 vcc_lo, exec_lo, s2
	s_cbranch_vccnz .LBB1_20
; %bb.2:
	s_load_b256 s[4:11], s[0:1], 0x0
	v_bfe_u32 v2, v0, 10, 10
	v_and_b32_e32 v0, 0x3ff, v0
	s_wait_xcnt 0x0
	s_delay_alu instid0(VALU_DEP_2)
	v_cmp_gt_u32_e64 s0, 16, v2
	s_and_saveexec_b32 s1, s0
	s_cbranch_execz .LBB1_5
; %bb.3:
	v_cmp_gt_u32_e32 vcc_lo, 16, v0
	s_and_b32 exec_lo, exec_lo, vcc_lo
	s_cbranch_execz .LBB1_5
; %bb.4:
	v_lshlrev_b32_e32 v1, 3, v0
	v_mov_b64_e32 v[4:5], 0
	s_delay_alu instid0(VALU_DEP_2)
	v_lshl_add_u32 v1, v2, 7, v1
	ds_store_b64 v1, v[4:5] offset:4096
.LBB1_5:
	s_or_b32 exec_lo, exec_lo, s1
	s_wait_kmcnt 0x0
	v_cmp_lt_i64_e64 s1, s[4:5], 1
	s_and_b32 vcc_lo, exec_lo, s1
	s_cbranch_vccnz .LBB1_16
; %bb.6:
	v_dual_mov_b32 v3, 0 :: v_dual_lshlrev_b32 v10, 3, v0
	s_lshl_b64 s[2:3], s[12:13], 7
	v_dual_lshlrev_b32 v16, 7, v2 :: v_dual_bitop2_b32 v14, v2, v0 bitop3:0x54
	s_delay_alu instid0(VALU_DEP_2) | instskip(SKIP_4) | instid1(VALU_DEP_4)
	v_mul_u64_e32 v[6:7], s[4:5], v[2:3]
	v_lshl_add_u64 v[4:5], s[14:15], 4, v[2:3]
	v_dual_mov_b32 v1, v3 :: v_dual_mov_b32 v11, v3
	v_add_nc_u32_e32 v17, 0x800, v10
	v_add_nc_u32_e32 v18, v16, v10
	v_mul_u64_e32 v[8:9], s[4:5], v[4:5]
	s_delay_alu instid0(VALU_DEP_4)
	v_lshl_add_u64 v[12:13], s[12:13], 4, v[0:1]
	v_cmp_gt_u64_e64 s1, s[4:5], v[4:5]
	v_add_nc_u32_e32 v19, v17, v16
	v_add_nc_u32_e32 v20, 0x1000, v18
	v_cmp_gt_u32_e32 vcc_lo, 16, v14
	v_lshl_add_u64 v[6:7], v[6:7], 3, s[2:3]
	v_cmp_gt_u64_e64 s2, s[4:5], v[12:13]
	s_delay_alu instid0(VALU_DEP_2) | instskip(SKIP_2) | instid1(SALU_CYCLE_1)
	v_add_nc_u64_e32 v[6:7], v[6:7], v[10:11]
	v_lshl_add_u64 v[8:9], v[8:9], 3, s[6:7]
	s_add_nc_u64 s[6:7], s[4:5], 15
	s_lshr_b64 s[6:7], s[6:7], 4
	s_delay_alu instid0(VALU_DEP_1) | instskip(NEXT) | instid1(VALU_DEP_3)
	v_add_nc_u64_e32 v[4:5], v[8:9], v[10:11]
	v_add_nc_u64_e32 v[6:7], s[8:9], v[6:7]
	v_mov_b64_e32 v[8:9], v[0:1]
	v_mov_b64_e32 v[10:11], v[2:3]
	s_lshl_b64 s[8:9], s[4:5], 7
	s_branch .LBB1_8
.LBB1_7:                                ;   in Loop: Header=BB1_8 Depth=1
	s_or_b32 exec_lo, exec_lo, s3
	v_add_nc_u64_e32 v[4:5], 0x80, v[4:5]
	v_add_nc_u64_e32 v[6:7], s[8:9], v[6:7]
	;; [unrolled: 1-line block ×4, first 2 shown]
	s_add_nc_u64 s[6:7], s[6:7], -1
	s_wait_dscnt 0x0
	s_cmp_eq_u64 s[6:7], 0
	s_barrier_signal -1
	s_barrier_wait -1
	s_cbranch_scc1 .LBB1_16
.LBB1_8:                                ; =>This Inner Loop Header: Depth=1
	s_and_saveexec_b32 s16, vcc_lo
	s_cbranch_execz .LBB1_14
; %bb.9:                                ;   in Loop: Header=BB1_8 Depth=1
	s_delay_alu instid0(VALU_DEP_2) | instskip(SKIP_3) | instid1(SALU_CYCLE_1)
	v_cmp_gt_i64_e64 s3, s[4:5], v[8:9]
	v_mov_b64_e32 v[12:13], 0
	v_mov_b64_e32 v[14:15], 0
	s_and_b32 s17, s3, s1
	s_and_saveexec_b32 s3, s17
	s_cbranch_execz .LBB1_11
; %bb.10:                               ;   in Loop: Header=BB1_8 Depth=1
	global_load_b64 v[14:15], v[4:5], off
.LBB1_11:                               ;   in Loop: Header=BB1_8 Depth=1
	s_wait_xcnt 0x0
	s_or_b32 exec_lo, exec_lo, s3
	v_cmp_gt_i64_e64 s3, s[4:5], v[10:11]
	s_wait_loadcnt 0x0
	ds_store_b64 v18, v[14:15]
	s_and_b32 s17, s3, s2
	s_delay_alu instid0(SALU_CYCLE_1)
	s_and_saveexec_b32 s3, s17
	s_cbranch_execz .LBB1_13
; %bb.12:                               ;   in Loop: Header=BB1_8 Depth=1
	global_load_b64 v[12:13], v[6:7], off
.LBB1_13:                               ;   in Loop: Header=BB1_8 Depth=1
	s_wait_xcnt 0x0
	s_or_b32 exec_lo, exec_lo, s3
	s_wait_loadcnt 0x0
	ds_store_b64 v19, v[12:13]
.LBB1_14:                               ;   in Loop: Header=BB1_8 Depth=1
	s_or_b32 exec_lo, exec_lo, s16
	s_wait_dscnt 0x0
	s_barrier_signal -1
	s_barrier_wait -1
	s_and_saveexec_b32 s3, vcc_lo
	s_cbranch_execz .LBB1_7
; %bb.15:                               ;   in Loop: Header=BB1_8 Depth=1
	ds_load_b64 v[30:31], v20
	ds_load_2addr_b64 v[12:15], v17 offset1:16
	ds_load_b128 v[22:25], v16
	ds_load_b128 v[26:29], v16 offset:16
	s_wait_dscnt 0x1
	v_fmac_f64_e32 v[30:31], v[22:23], v[12:13]
	s_delay_alu instid0(VALU_DEP_1) | instskip(SKIP_3) | instid1(VALU_DEP_1)
	v_fmac_f64_e32 v[30:31], v[24:25], v[14:15]
	ds_load_2addr_b64 v[12:15], v17 offset0:32 offset1:48
	s_wait_dscnt 0x0
	v_fmac_f64_e32 v[30:31], v[26:27], v[12:13]
	v_fmac_f64_e32 v[30:31], v[28:29], v[14:15]
	ds_load_2addr_b64 v[12:15], v17 offset0:64 offset1:80
	ds_load_b128 v[22:25], v16 offset:32
	ds_load_b128 v[26:29], v16 offset:48
	s_wait_dscnt 0x1
	v_fmac_f64_e32 v[30:31], v[22:23], v[12:13]
	s_delay_alu instid0(VALU_DEP_1) | instskip(SKIP_3) | instid1(VALU_DEP_1)
	v_fmac_f64_e32 v[30:31], v[24:25], v[14:15]
	ds_load_2addr_b64 v[12:15], v17 offset0:96 offset1:112
	s_wait_dscnt 0x0
	v_fmac_f64_e32 v[30:31], v[26:27], v[12:13]
	v_fmac_f64_e32 v[30:31], v[28:29], v[14:15]
	ds_load_2addr_b64 v[12:15], v17 offset0:128 offset1:144
	ds_load_b128 v[22:25], v16 offset:64
	;; [unrolled: 11-line block ×3, first 2 shown]
	ds_load_b128 v[26:29], v16 offset:112
	s_wait_dscnt 0x1
	v_fmac_f64_e32 v[30:31], v[22:23], v[12:13]
	s_delay_alu instid0(VALU_DEP_1) | instskip(SKIP_3) | instid1(VALU_DEP_1)
	v_fmac_f64_e32 v[30:31], v[24:25], v[14:15]
	ds_load_2addr_b64 v[12:15], v17 offset0:224 offset1:240
	s_wait_dscnt 0x0
	v_fmac_f64_e32 v[30:31], v[26:27], v[12:13]
	v_fmac_f64_e32 v[30:31], v[28:29], v[14:15]
	ds_store_b64 v20, v[30:31]
	s_branch .LBB1_7
.LBB1_16:
	s_and_saveexec_b32 s1, s0
	s_cbranch_execz .LBB1_20
; %bb.17:
	v_cmp_gt_u32_e32 vcc_lo, 16, v0
	s_and_b32 exec_lo, exec_lo, vcc_lo
	s_cbranch_execz .LBB1_20
; %bb.18:
	s_lshl_b64 s[0:1], s[14:15], 4
	s_lshl_b64 s[2:3], s[12:13], 4
	v_dual_mov_b32 v7, s1 :: v_dual_bitop2_b32 v6, s0, v2 bitop3:0x54
	v_dual_mov_b32 v5, s3 :: v_dual_bitop2_b32 v4, s2, v0 bitop3:0x54
	s_delay_alu instid0(VALU_DEP_1) | instskip(NEXT) | instid1(VALU_DEP_1)
	v_max_i64 v[8:9], v[6:7], v[4:5]
	v_cmp_gt_i64_e32 vcc_lo, s[4:5], v[8:9]
	s_and_b32 exec_lo, exec_lo, vcc_lo
	s_cbranch_execz .LBB1_20
; %bb.19:
	v_mul_u64_e32 v[6:7], s[4:5], v[6:7]
	v_lshlrev_b32_e32 v0, 3, v0
	s_delay_alu instid0(VALU_DEP_1)
	v_lshl_add_u32 v0, v2, 7, v0
	v_lshl_add_u64 v[2:3], v[4:5], 3, s[10:11]
	ds_load_b64 v[0:1], v0 offset:4096
	v_lshl_add_u64 v[2:3], v[6:7], 3, v[2:3]
	s_wait_dscnt 0x0
	global_store_b64 v[2:3], v[0:1], off
.LBB1_20:
	s_endpgm
	.section	.rodata,"a",@progbits
	.p2align	6, 0x0
	.amdhsa_kernel _ZN8rajaperf10lambda_hipILm256EZNS_5basic14MAT_MAT_SHARED17runHipVariantImplILm256EEEvNS_9VariantIDEEUlvE_EEvT0_
		.amdhsa_group_segment_fixed_size 6144
		.amdhsa_private_segment_fixed_size 0
		.amdhsa_kernarg_size 48
		.amdhsa_user_sgpr_count 2
		.amdhsa_user_sgpr_dispatch_ptr 0
		.amdhsa_user_sgpr_queue_ptr 0
		.amdhsa_user_sgpr_kernarg_segment_ptr 1
		.amdhsa_user_sgpr_dispatch_id 0
		.amdhsa_user_sgpr_kernarg_preload_length 0
		.amdhsa_user_sgpr_kernarg_preload_offset 0
		.amdhsa_user_sgpr_private_segment_size 0
		.amdhsa_wavefront_size32 1
		.amdhsa_uses_dynamic_stack 0
		.amdhsa_enable_private_segment 0
		.amdhsa_system_sgpr_workgroup_id_x 1
		.amdhsa_system_sgpr_workgroup_id_y 1
		.amdhsa_system_sgpr_workgroup_id_z 0
		.amdhsa_system_sgpr_workgroup_info 0
		.amdhsa_system_vgpr_workitem_id 1
		.amdhsa_next_free_vgpr 32
		.amdhsa_next_free_sgpr 18
		.amdhsa_named_barrier_count 0
		.amdhsa_reserve_vcc 1
		.amdhsa_float_round_mode_32 0
		.amdhsa_float_round_mode_16_64 0
		.amdhsa_float_denorm_mode_32 3
		.amdhsa_float_denorm_mode_16_64 3
		.amdhsa_fp16_overflow 0
		.amdhsa_memory_ordered 1
		.amdhsa_forward_progress 1
		.amdhsa_inst_pref_size 8
		.amdhsa_round_robin_scheduling 0
		.amdhsa_exception_fp_ieee_invalid_op 0
		.amdhsa_exception_fp_denorm_src 0
		.amdhsa_exception_fp_ieee_div_zero 0
		.amdhsa_exception_fp_ieee_overflow 0
		.amdhsa_exception_fp_ieee_underflow 0
		.amdhsa_exception_fp_ieee_inexact 0
		.amdhsa_exception_int_div_zero 0
	.end_amdhsa_kernel
	.section	.text._ZN8rajaperf10lambda_hipILm256EZNS_5basic14MAT_MAT_SHARED17runHipVariantImplILm256EEEvNS_9VariantIDEEUlvE_EEvT0_,"axG",@progbits,_ZN8rajaperf10lambda_hipILm256EZNS_5basic14MAT_MAT_SHARED17runHipVariantImplILm256EEEvNS_9VariantIDEEUlvE_EEvT0_,comdat
.Lfunc_end1:
	.size	_ZN8rajaperf10lambda_hipILm256EZNS_5basic14MAT_MAT_SHARED17runHipVariantImplILm256EEEvNS_9VariantIDEEUlvE_EEvT0_, .Lfunc_end1-_ZN8rajaperf10lambda_hipILm256EZNS_5basic14MAT_MAT_SHARED17runHipVariantImplILm256EEEvNS_9VariantIDEEUlvE_EEvT0_
                                        ; -- End function
	.set _ZN8rajaperf10lambda_hipILm256EZNS_5basic14MAT_MAT_SHARED17runHipVariantImplILm256EEEvNS_9VariantIDEEUlvE_EEvT0_.num_vgpr, 32
	.set _ZN8rajaperf10lambda_hipILm256EZNS_5basic14MAT_MAT_SHARED17runHipVariantImplILm256EEEvNS_9VariantIDEEUlvE_EEvT0_.num_agpr, 0
	.set _ZN8rajaperf10lambda_hipILm256EZNS_5basic14MAT_MAT_SHARED17runHipVariantImplILm256EEEvNS_9VariantIDEEUlvE_EEvT0_.numbered_sgpr, 18
	.set _ZN8rajaperf10lambda_hipILm256EZNS_5basic14MAT_MAT_SHARED17runHipVariantImplILm256EEEvNS_9VariantIDEEUlvE_EEvT0_.num_named_barrier, 0
	.set _ZN8rajaperf10lambda_hipILm256EZNS_5basic14MAT_MAT_SHARED17runHipVariantImplILm256EEEvNS_9VariantIDEEUlvE_EEvT0_.private_seg_size, 0
	.set _ZN8rajaperf10lambda_hipILm256EZNS_5basic14MAT_MAT_SHARED17runHipVariantImplILm256EEEvNS_9VariantIDEEUlvE_EEvT0_.uses_vcc, 1
	.set _ZN8rajaperf10lambda_hipILm256EZNS_5basic14MAT_MAT_SHARED17runHipVariantImplILm256EEEvNS_9VariantIDEEUlvE_EEvT0_.uses_flat_scratch, 0
	.set _ZN8rajaperf10lambda_hipILm256EZNS_5basic14MAT_MAT_SHARED17runHipVariantImplILm256EEEvNS_9VariantIDEEUlvE_EEvT0_.has_dyn_sized_stack, 0
	.set _ZN8rajaperf10lambda_hipILm256EZNS_5basic14MAT_MAT_SHARED17runHipVariantImplILm256EEEvNS_9VariantIDEEUlvE_EEvT0_.has_recursion, 0
	.set _ZN8rajaperf10lambda_hipILm256EZNS_5basic14MAT_MAT_SHARED17runHipVariantImplILm256EEEvNS_9VariantIDEEUlvE_EEvT0_.has_indirect_call, 0
	.section	.AMDGPU.csdata,"",@progbits
; Kernel info:
; codeLenInByte = 1024
; TotalNumSgprs: 20
; NumVgprs: 32
; ScratchSize: 0
; MemoryBound: 0
; FloatMode: 240
; IeeeMode: 1
; LDSByteSize: 6144 bytes/workgroup (compile time only)
; SGPRBlocks: 0
; VGPRBlocks: 1
; NumSGPRsForWavesPerEU: 20
; NumVGPRsForWavesPerEU: 32
; NamedBarCnt: 0
; Occupancy: 16
; WaveLimiterHint : 0
; COMPUTE_PGM_RSRC2:SCRATCH_EN: 0
; COMPUTE_PGM_RSRC2:USER_SGPR: 2
; COMPUTE_PGM_RSRC2:TRAP_HANDLER: 0
; COMPUTE_PGM_RSRC2:TGID_X_EN: 1
; COMPUTE_PGM_RSRC2:TGID_Y_EN: 1
; COMPUTE_PGM_RSRC2:TGID_Z_EN: 0
; COMPUTE_PGM_RSRC2:TIDIG_COMP_CNT: 1
	.section	.text._ZN4RAJA34launch_new_reduce_global_fcn_fixedIZN8rajaperf5basic14MAT_MAT_SHARED17runHipVariantImplILm256EEEvNS1_9VariantIDEEUlNS_14LaunchContextTINS_3hip33LaunchContextIndicesAndDimsPolicyINS7_14IndicesAndDimsILb0ELb0ELb0ELb0EEEEEEEE_Li256ENS_4expt15ForallParamPackIJEEEEEvT_T1_,"axG",@progbits,_ZN4RAJA34launch_new_reduce_global_fcn_fixedIZN8rajaperf5basic14MAT_MAT_SHARED17runHipVariantImplILm256EEEvNS1_9VariantIDEEUlNS_14LaunchContextTINS_3hip33LaunchContextIndicesAndDimsPolicyINS7_14IndicesAndDimsILb0ELb0ELb0ELb0EEEEEEEE_Li256ENS_4expt15ForallParamPackIJEEEEEvT_T1_,comdat
	.protected	_ZN4RAJA34launch_new_reduce_global_fcn_fixedIZN8rajaperf5basic14MAT_MAT_SHARED17runHipVariantImplILm256EEEvNS1_9VariantIDEEUlNS_14LaunchContextTINS_3hip33LaunchContextIndicesAndDimsPolicyINS7_14IndicesAndDimsILb0ELb0ELb0ELb0EEEEEEEE_Li256ENS_4expt15ForallParamPackIJEEEEEvT_T1_ ; -- Begin function _ZN4RAJA34launch_new_reduce_global_fcn_fixedIZN8rajaperf5basic14MAT_MAT_SHARED17runHipVariantImplILm256EEEvNS1_9VariantIDEEUlNS_14LaunchContextTINS_3hip33LaunchContextIndicesAndDimsPolicyINS7_14IndicesAndDimsILb0ELb0ELb0ELb0EEEEEEEE_Li256ENS_4expt15ForallParamPackIJEEEEEvT_T1_
	.globl	_ZN4RAJA34launch_new_reduce_global_fcn_fixedIZN8rajaperf5basic14MAT_MAT_SHARED17runHipVariantImplILm256EEEvNS1_9VariantIDEEUlNS_14LaunchContextTINS_3hip33LaunchContextIndicesAndDimsPolicyINS7_14IndicesAndDimsILb0ELb0ELb0ELb0EEEEEEEE_Li256ENS_4expt15ForallParamPackIJEEEEEvT_T1_
	.p2align	8
	.type	_ZN4RAJA34launch_new_reduce_global_fcn_fixedIZN8rajaperf5basic14MAT_MAT_SHARED17runHipVariantImplILm256EEEvNS1_9VariantIDEEUlNS_14LaunchContextTINS_3hip33LaunchContextIndicesAndDimsPolicyINS7_14IndicesAndDimsILb0ELb0ELb0ELb0EEEEEEEE_Li256ENS_4expt15ForallParamPackIJEEEEEvT_T1_,@function
_ZN4RAJA34launch_new_reduce_global_fcn_fixedIZN8rajaperf5basic14MAT_MAT_SHARED17runHipVariantImplILm256EEEvNS1_9VariantIDEEUlNS_14LaunchContextTINS_3hip33LaunchContextIndicesAndDimsPolicyINS7_14IndicesAndDimsILb0ELb0ELb0ELb0EEEEEEEE_Li256ENS_4expt15ForallParamPackIJEEEEEvT_T1_: ; @_ZN4RAJA34launch_new_reduce_global_fcn_fixedIZN8rajaperf5basic14MAT_MAT_SHARED17runHipVariantImplILm256EEEvNS1_9VariantIDEEUlNS_14LaunchContextTINS_3hip33LaunchContextIndicesAndDimsPolicyINS7_14IndicesAndDimsILb0ELb0ELb0ELb0EEEEEEEE_Li256ENS_4expt15ForallParamPackIJEEEEEvT_T1_
; %bb.0:
	s_load_b64 s[4:5], s[0:1], 0x0
	s_bfe_u32 s2, ttmp6, 0x40010
	s_bfe_u32 s6, ttmp6, 0x40004
	s_add_co_i32 s2, s2, 1
	s_mov_b32 s13, 0
	s_mul_i32 s3, ttmp7, s2
	s_getreg_b32 s2, hwreg(HW_REG_IB_STS2, 6, 4)
	s_add_co_i32 s6, s6, s3
	s_cmp_eq_u32 s2, 0
	s_mov_b32 s15, s13
	s_cselect_b32 s14, ttmp7, s6
	s_wait_kmcnt 0x0
	v_cmp_le_i64_e64 s3, s[4:5], s[14:15]
	s_and_b32 vcc_lo, exec_lo, s3
	s_cbranch_vccnz .LBB2_20
; %bb.1:
	s_load_b64 s[4:5], s[0:1], 0x8
	s_bfe_u32 s3, ttmp6, 0x4000c
	s_and_b32 s6, ttmp6, 15
	s_add_co_i32 s3, s3, 1
	s_delay_alu instid0(SALU_CYCLE_1) | instskip(NEXT) | instid1(SALU_CYCLE_1)
	s_mul_i32 s3, ttmp9, s3
	s_add_co_i32 s6, s6, s3
	s_cmp_eq_u32 s2, 0
	s_cselect_b32 s12, ttmp9, s6
	s_wait_kmcnt 0x0
	v_cmp_le_i64_e64 s2, s[4:5], s[12:13]
	s_and_b32 vcc_lo, exec_lo, s2
	s_cbranch_vccnz .LBB2_20
; %bb.2:
	s_load_b256 s[4:11], s[0:1], 0x10
	v_bfe_u32 v2, v0, 10, 10
	v_mov_b32_e32 v3, 0
	v_and_b32_e32 v0, 0x3ff, v0
	s_wait_xcnt 0x0
	s_delay_alu instid0(VALU_DEP_3)
	v_cmp_gt_u32_e64 s0, 16, v2
	s_and_saveexec_b32 s1, s0
	s_cbranch_execz .LBB2_5
; %bb.3:
	v_cmp_gt_u32_e32 vcc_lo, 16, v0
	s_and_b32 exec_lo, exec_lo, vcc_lo
	s_cbranch_execz .LBB2_5
; %bb.4:
	v_lshlrev_b32_e32 v1, 3, v0
	v_mov_b64_e32 v[4:5], 0
	s_delay_alu instid0(VALU_DEP_2)
	v_lshl_add_u32 v1, v2, 7, v1
	ds_store_b64 v1, v[4:5] offset:4096
.LBB2_5:
	s_or_b32 exec_lo, exec_lo, s1
	s_wait_kmcnt 0x0
	v_cmp_lt_i64_e64 s1, s[4:5], 1
	s_and_b32 vcc_lo, exec_lo, s1
	s_cbranch_vccnz .LBB2_16
; %bb.6:
	v_mul_u64_e32 v[6:7], s[4:5], v[2:3]
	v_lshl_add_u64 v[4:5], s[14:15], 4, v[2:3]
	v_dual_mov_b32 v1, 0 :: v_dual_lshlrev_b32 v10, 3, v0
	s_lshl_b64 s[2:3], s[12:13], 7
	v_dual_lshlrev_b32 v16, 7, v2 :: v_dual_bitop2_b32 v14, v2, v0 bitop3:0x54
	s_delay_alu instid0(VALU_DEP_3) | instskip(NEXT) | instid1(VALU_DEP_3)
	v_mul_u64_e32 v[8:9], s[4:5], v[4:5]
	v_mov_b32_e32 v11, v1
	v_lshl_add_u64 v[12:13], s[12:13], 4, v[0:1]
	s_delay_alu instid0(VALU_DEP_4) | instskip(SKIP_3) | instid1(VALU_DEP_4)
	v_add_nc_u32_e32 v18, v16, v10
	v_add_nc_u32_e32 v17, 0x800, v10
	v_cmp_gt_u64_e64 s1, s[4:5], v[4:5]
	v_cmp_gt_u32_e32 vcc_lo, 16, v14
	v_add_nc_u32_e32 v20, 0x1000, v18
	s_delay_alu instid0(VALU_DEP_4) | instskip(SKIP_2) | instid1(VALU_DEP_2)
	v_add_nc_u32_e32 v19, v17, v16
	v_lshl_add_u64 v[6:7], v[6:7], 3, s[2:3]
	v_cmp_gt_u64_e64 s2, s[4:5], v[12:13]
	v_add_nc_u64_e32 v[6:7], v[6:7], v[10:11]
	v_lshl_add_u64 v[8:9], v[8:9], 3, s[6:7]
	s_add_nc_u64 s[6:7], s[4:5], 15
	s_delay_alu instid0(SALU_CYCLE_1) | instskip(NEXT) | instid1(VALU_DEP_1)
	s_lshr_b64 s[6:7], s[6:7], 4
	v_add_nc_u64_e32 v[4:5], v[8:9], v[10:11]
	s_delay_alu instid0(VALU_DEP_3)
	v_add_nc_u64_e32 v[6:7], s[8:9], v[6:7]
	v_mov_b64_e32 v[8:9], v[0:1]
	v_mov_b64_e32 v[10:11], v[2:3]
	s_lshl_b64 s[8:9], s[4:5], 7
	s_branch .LBB2_8
.LBB2_7:                                ;   in Loop: Header=BB2_8 Depth=1
	s_or_b32 exec_lo, exec_lo, s3
	v_add_nc_u64_e32 v[4:5], 0x80, v[4:5]
	v_add_nc_u64_e32 v[6:7], s[8:9], v[6:7]
	v_add_nc_u64_e32 v[10:11], 16, v[10:11]
	v_add_nc_u64_e32 v[8:9], 16, v[8:9]
	s_add_nc_u64 s[6:7], s[6:7], -1
	s_wait_dscnt 0x0
	s_cmp_eq_u64 s[6:7], 0
	s_barrier_signal -1
	s_barrier_wait -1
	s_cbranch_scc1 .LBB2_16
.LBB2_8:                                ; =>This Inner Loop Header: Depth=1
	s_and_saveexec_b32 s16, vcc_lo
	s_cbranch_execz .LBB2_14
; %bb.9:                                ;   in Loop: Header=BB2_8 Depth=1
	s_delay_alu instid0(VALU_DEP_2) | instskip(SKIP_3) | instid1(SALU_CYCLE_1)
	v_cmp_gt_i64_e64 s3, s[4:5], v[8:9]
	v_mov_b64_e32 v[12:13], 0
	v_mov_b64_e32 v[14:15], 0
	s_and_b32 s17, s3, s1
	s_and_saveexec_b32 s3, s17
	s_cbranch_execz .LBB2_11
; %bb.10:                               ;   in Loop: Header=BB2_8 Depth=1
	global_load_b64 v[14:15], v[4:5], off
.LBB2_11:                               ;   in Loop: Header=BB2_8 Depth=1
	s_wait_xcnt 0x0
	s_or_b32 exec_lo, exec_lo, s3
	v_cmp_gt_i64_e64 s3, s[4:5], v[10:11]
	s_wait_loadcnt 0x0
	ds_store_b64 v18, v[14:15]
	s_and_b32 s17, s3, s2
	s_delay_alu instid0(SALU_CYCLE_1)
	s_and_saveexec_b32 s3, s17
	s_cbranch_execz .LBB2_13
; %bb.12:                               ;   in Loop: Header=BB2_8 Depth=1
	global_load_b64 v[12:13], v[6:7], off
.LBB2_13:                               ;   in Loop: Header=BB2_8 Depth=1
	s_wait_xcnt 0x0
	s_or_b32 exec_lo, exec_lo, s3
	s_wait_loadcnt 0x0
	ds_store_b64 v19, v[12:13]
.LBB2_14:                               ;   in Loop: Header=BB2_8 Depth=1
	s_or_b32 exec_lo, exec_lo, s16
	s_wait_dscnt 0x0
	s_barrier_signal -1
	s_barrier_wait -1
	s_and_saveexec_b32 s3, vcc_lo
	s_cbranch_execz .LBB2_7
; %bb.15:                               ;   in Loop: Header=BB2_8 Depth=1
	ds_load_b64 v[30:31], v20
	ds_load_2addr_b64 v[12:15], v17 offset1:16
	ds_load_b128 v[22:25], v16
	ds_load_b128 v[26:29], v16 offset:16
	s_wait_dscnt 0x1
	v_fmac_f64_e32 v[30:31], v[22:23], v[12:13]
	s_delay_alu instid0(VALU_DEP_1) | instskip(SKIP_3) | instid1(VALU_DEP_1)
	v_fmac_f64_e32 v[30:31], v[24:25], v[14:15]
	ds_load_2addr_b64 v[12:15], v17 offset0:32 offset1:48
	s_wait_dscnt 0x0
	v_fmac_f64_e32 v[30:31], v[26:27], v[12:13]
	v_fmac_f64_e32 v[30:31], v[28:29], v[14:15]
	ds_load_2addr_b64 v[12:15], v17 offset0:64 offset1:80
	ds_load_b128 v[22:25], v16 offset:32
	ds_load_b128 v[26:29], v16 offset:48
	s_wait_dscnt 0x1
	v_fmac_f64_e32 v[30:31], v[22:23], v[12:13]
	s_delay_alu instid0(VALU_DEP_1) | instskip(SKIP_3) | instid1(VALU_DEP_1)
	v_fmac_f64_e32 v[30:31], v[24:25], v[14:15]
	ds_load_2addr_b64 v[12:15], v17 offset0:96 offset1:112
	s_wait_dscnt 0x0
	v_fmac_f64_e32 v[30:31], v[26:27], v[12:13]
	v_fmac_f64_e32 v[30:31], v[28:29], v[14:15]
	ds_load_2addr_b64 v[12:15], v17 offset0:128 offset1:144
	ds_load_b128 v[22:25], v16 offset:64
	;; [unrolled: 11-line block ×3, first 2 shown]
	ds_load_b128 v[26:29], v16 offset:112
	s_wait_dscnt 0x1
	v_fmac_f64_e32 v[30:31], v[22:23], v[12:13]
	s_delay_alu instid0(VALU_DEP_1) | instskip(SKIP_3) | instid1(VALU_DEP_1)
	v_fmac_f64_e32 v[30:31], v[24:25], v[14:15]
	ds_load_2addr_b64 v[12:15], v17 offset0:224 offset1:240
	s_wait_dscnt 0x0
	v_fmac_f64_e32 v[30:31], v[26:27], v[12:13]
	v_fmac_f64_e32 v[30:31], v[28:29], v[14:15]
	ds_store_b64 v20, v[30:31]
	s_branch .LBB2_7
.LBB2_16:
	s_and_saveexec_b32 s1, s0
	s_cbranch_execz .LBB2_20
; %bb.17:
	v_cmp_gt_u32_e32 vcc_lo, 16, v0
	s_and_b32 exec_lo, exec_lo, vcc_lo
	s_cbranch_execz .LBB2_20
; %bb.18:
	s_lshl_b64 s[0:1], s[14:15], 4
	s_lshl_b64 s[2:3], s[12:13], 4
	v_dual_mov_b32 v7, s1 :: v_dual_bitop2_b32 v6, s0, v2 bitop3:0x54
	v_dual_mov_b32 v5, s3 :: v_dual_bitop2_b32 v4, s2, v0 bitop3:0x54
	s_delay_alu instid0(VALU_DEP_1) | instskip(NEXT) | instid1(VALU_DEP_1)
	v_max_i64 v[8:9], v[6:7], v[4:5]
	v_cmp_gt_i64_e32 vcc_lo, s[4:5], v[8:9]
	s_and_b32 exec_lo, exec_lo, vcc_lo
	s_cbranch_execz .LBB2_20
; %bb.19:
	v_mul_u64_e32 v[6:7], s[4:5], v[6:7]
	v_lshlrev_b32_e32 v0, 3, v0
	s_delay_alu instid0(VALU_DEP_1)
	v_lshl_add_u32 v0, v2, 7, v0
	v_lshl_add_u64 v[2:3], v[4:5], 3, s[10:11]
	ds_load_b64 v[0:1], v0 offset:4096
	v_lshl_add_u64 v[2:3], v[6:7], 3, v[2:3]
	s_wait_dscnt 0x0
	global_store_b64 v[2:3], v[0:1], off
.LBB2_20:
	s_endpgm
	.section	.rodata,"a",@progbits
	.p2align	6, 0x0
	.amdhsa_kernel _ZN4RAJA34launch_new_reduce_global_fcn_fixedIZN8rajaperf5basic14MAT_MAT_SHARED17runHipVariantImplILm256EEEvNS1_9VariantIDEEUlNS_14LaunchContextTINS_3hip33LaunchContextIndicesAndDimsPolicyINS7_14IndicesAndDimsILb0ELb0ELb0ELb0EEEEEEEE_Li256ENS_4expt15ForallParamPackIJEEEEEvT_T1_
		.amdhsa_group_segment_fixed_size 6144
		.amdhsa_private_segment_fixed_size 0
		.amdhsa_kernarg_size 52
		.amdhsa_user_sgpr_count 2
		.amdhsa_user_sgpr_dispatch_ptr 0
		.amdhsa_user_sgpr_queue_ptr 0
		.amdhsa_user_sgpr_kernarg_segment_ptr 1
		.amdhsa_user_sgpr_dispatch_id 0
		.amdhsa_user_sgpr_kernarg_preload_length 0
		.amdhsa_user_sgpr_kernarg_preload_offset 0
		.amdhsa_user_sgpr_private_segment_size 0
		.amdhsa_wavefront_size32 1
		.amdhsa_uses_dynamic_stack 0
		.amdhsa_enable_private_segment 0
		.amdhsa_system_sgpr_workgroup_id_x 1
		.amdhsa_system_sgpr_workgroup_id_y 1
		.amdhsa_system_sgpr_workgroup_id_z 0
		.amdhsa_system_sgpr_workgroup_info 0
		.amdhsa_system_vgpr_workitem_id 1
		.amdhsa_next_free_vgpr 32
		.amdhsa_next_free_sgpr 18
		.amdhsa_named_barrier_count 0
		.amdhsa_reserve_vcc 1
		.amdhsa_float_round_mode_32 0
		.amdhsa_float_round_mode_16_64 0
		.amdhsa_float_denorm_mode_32 3
		.amdhsa_float_denorm_mode_16_64 3
		.amdhsa_fp16_overflow 0
		.amdhsa_memory_ordered 1
		.amdhsa_forward_progress 1
		.amdhsa_inst_pref_size 8
		.amdhsa_round_robin_scheduling 0
		.amdhsa_exception_fp_ieee_invalid_op 0
		.amdhsa_exception_fp_denorm_src 0
		.amdhsa_exception_fp_ieee_div_zero 0
		.amdhsa_exception_fp_ieee_overflow 0
		.amdhsa_exception_fp_ieee_underflow 0
		.amdhsa_exception_fp_ieee_inexact 0
		.amdhsa_exception_int_div_zero 0
	.end_amdhsa_kernel
	.section	.text._ZN4RAJA34launch_new_reduce_global_fcn_fixedIZN8rajaperf5basic14MAT_MAT_SHARED17runHipVariantImplILm256EEEvNS1_9VariantIDEEUlNS_14LaunchContextTINS_3hip33LaunchContextIndicesAndDimsPolicyINS7_14IndicesAndDimsILb0ELb0ELb0ELb0EEEEEEEE_Li256ENS_4expt15ForallParamPackIJEEEEEvT_T1_,"axG",@progbits,_ZN4RAJA34launch_new_reduce_global_fcn_fixedIZN8rajaperf5basic14MAT_MAT_SHARED17runHipVariantImplILm256EEEvNS1_9VariantIDEEUlNS_14LaunchContextTINS_3hip33LaunchContextIndicesAndDimsPolicyINS7_14IndicesAndDimsILb0ELb0ELb0ELb0EEEEEEEE_Li256ENS_4expt15ForallParamPackIJEEEEEvT_T1_,comdat
.Lfunc_end2:
	.size	_ZN4RAJA34launch_new_reduce_global_fcn_fixedIZN8rajaperf5basic14MAT_MAT_SHARED17runHipVariantImplILm256EEEvNS1_9VariantIDEEUlNS_14LaunchContextTINS_3hip33LaunchContextIndicesAndDimsPolicyINS7_14IndicesAndDimsILb0ELb0ELb0ELb0EEEEEEEE_Li256ENS_4expt15ForallParamPackIJEEEEEvT_T1_, .Lfunc_end2-_ZN4RAJA34launch_new_reduce_global_fcn_fixedIZN8rajaperf5basic14MAT_MAT_SHARED17runHipVariantImplILm256EEEvNS1_9VariantIDEEUlNS_14LaunchContextTINS_3hip33LaunchContextIndicesAndDimsPolicyINS7_14IndicesAndDimsILb0ELb0ELb0ELb0EEEEEEEE_Li256ENS_4expt15ForallParamPackIJEEEEEvT_T1_
                                        ; -- End function
	.set _ZN4RAJA34launch_new_reduce_global_fcn_fixedIZN8rajaperf5basic14MAT_MAT_SHARED17runHipVariantImplILm256EEEvNS1_9VariantIDEEUlNS_14LaunchContextTINS_3hip33LaunchContextIndicesAndDimsPolicyINS7_14IndicesAndDimsILb0ELb0ELb0ELb0EEEEEEEE_Li256ENS_4expt15ForallParamPackIJEEEEEvT_T1_.num_vgpr, 32
	.set _ZN4RAJA34launch_new_reduce_global_fcn_fixedIZN8rajaperf5basic14MAT_MAT_SHARED17runHipVariantImplILm256EEEvNS1_9VariantIDEEUlNS_14LaunchContextTINS_3hip33LaunchContextIndicesAndDimsPolicyINS7_14IndicesAndDimsILb0ELb0ELb0ELb0EEEEEEEE_Li256ENS_4expt15ForallParamPackIJEEEEEvT_T1_.num_agpr, 0
	.set _ZN4RAJA34launch_new_reduce_global_fcn_fixedIZN8rajaperf5basic14MAT_MAT_SHARED17runHipVariantImplILm256EEEvNS1_9VariantIDEEUlNS_14LaunchContextTINS_3hip33LaunchContextIndicesAndDimsPolicyINS7_14IndicesAndDimsILb0ELb0ELb0ELb0EEEEEEEE_Li256ENS_4expt15ForallParamPackIJEEEEEvT_T1_.numbered_sgpr, 18
	.set _ZN4RAJA34launch_new_reduce_global_fcn_fixedIZN8rajaperf5basic14MAT_MAT_SHARED17runHipVariantImplILm256EEEvNS1_9VariantIDEEUlNS_14LaunchContextTINS_3hip33LaunchContextIndicesAndDimsPolicyINS7_14IndicesAndDimsILb0ELb0ELb0ELb0EEEEEEEE_Li256ENS_4expt15ForallParamPackIJEEEEEvT_T1_.num_named_barrier, 0
	.set _ZN4RAJA34launch_new_reduce_global_fcn_fixedIZN8rajaperf5basic14MAT_MAT_SHARED17runHipVariantImplILm256EEEvNS1_9VariantIDEEUlNS_14LaunchContextTINS_3hip33LaunchContextIndicesAndDimsPolicyINS7_14IndicesAndDimsILb0ELb0ELb0ELb0EEEEEEEE_Li256ENS_4expt15ForallParamPackIJEEEEEvT_T1_.private_seg_size, 0
	.set _ZN4RAJA34launch_new_reduce_global_fcn_fixedIZN8rajaperf5basic14MAT_MAT_SHARED17runHipVariantImplILm256EEEvNS1_9VariantIDEEUlNS_14LaunchContextTINS_3hip33LaunchContextIndicesAndDimsPolicyINS7_14IndicesAndDimsILb0ELb0ELb0ELb0EEEEEEEE_Li256ENS_4expt15ForallParamPackIJEEEEEvT_T1_.uses_vcc, 1
	.set _ZN4RAJA34launch_new_reduce_global_fcn_fixedIZN8rajaperf5basic14MAT_MAT_SHARED17runHipVariantImplILm256EEEvNS1_9VariantIDEEUlNS_14LaunchContextTINS_3hip33LaunchContextIndicesAndDimsPolicyINS7_14IndicesAndDimsILb0ELb0ELb0ELb0EEEEEEEE_Li256ENS_4expt15ForallParamPackIJEEEEEvT_T1_.uses_flat_scratch, 0
	.set _ZN4RAJA34launch_new_reduce_global_fcn_fixedIZN8rajaperf5basic14MAT_MAT_SHARED17runHipVariantImplILm256EEEvNS1_9VariantIDEEUlNS_14LaunchContextTINS_3hip33LaunchContextIndicesAndDimsPolicyINS7_14IndicesAndDimsILb0ELb0ELb0ELb0EEEEEEEE_Li256ENS_4expt15ForallParamPackIJEEEEEvT_T1_.has_dyn_sized_stack, 0
	.set _ZN4RAJA34launch_new_reduce_global_fcn_fixedIZN8rajaperf5basic14MAT_MAT_SHARED17runHipVariantImplILm256EEEvNS1_9VariantIDEEUlNS_14LaunchContextTINS_3hip33LaunchContextIndicesAndDimsPolicyINS7_14IndicesAndDimsILb0ELb0ELb0ELb0EEEEEEEE_Li256ENS_4expt15ForallParamPackIJEEEEEvT_T1_.has_recursion, 0
	.set _ZN4RAJA34launch_new_reduce_global_fcn_fixedIZN8rajaperf5basic14MAT_MAT_SHARED17runHipVariantImplILm256EEEvNS1_9VariantIDEEUlNS_14LaunchContextTINS_3hip33LaunchContextIndicesAndDimsPolicyINS7_14IndicesAndDimsILb0ELb0ELb0ELb0EEEEEEEE_Li256ENS_4expt15ForallParamPackIJEEEEEvT_T1_.has_indirect_call, 0
	.section	.AMDGPU.csdata,"",@progbits
; Kernel info:
; codeLenInByte = 1024
; TotalNumSgprs: 20
; NumVgprs: 32
; ScratchSize: 0
; MemoryBound: 0
; FloatMode: 240
; IeeeMode: 1
; LDSByteSize: 6144 bytes/workgroup (compile time only)
; SGPRBlocks: 0
; VGPRBlocks: 1
; NumSGPRsForWavesPerEU: 20
; NumVGPRsForWavesPerEU: 32
; NamedBarCnt: 0
; Occupancy: 16
; WaveLimiterHint : 0
; COMPUTE_PGM_RSRC2:SCRATCH_EN: 0
; COMPUTE_PGM_RSRC2:USER_SGPR: 2
; COMPUTE_PGM_RSRC2:TRAP_HANDLER: 0
; COMPUTE_PGM_RSRC2:TGID_X_EN: 1
; COMPUTE_PGM_RSRC2:TGID_Y_EN: 1
; COMPUTE_PGM_RSRC2:TGID_Z_EN: 0
; COMPUTE_PGM_RSRC2:TIDIG_COMP_CNT: 1
	.section	.AMDGPU.gpr_maximums,"",@progbits
	.set amdgpu.max_num_vgpr, 0
	.set amdgpu.max_num_agpr, 0
	.set amdgpu.max_num_sgpr, 0
	.section	.AMDGPU.csdata,"",@progbits
	.type	__hip_cuid_e1baf18d6d9d6408,@object ; @__hip_cuid_e1baf18d6d9d6408
	.section	.bss,"aw",@nobits
	.globl	__hip_cuid_e1baf18d6d9d6408
__hip_cuid_e1baf18d6d9d6408:
	.byte	0                               ; 0x0
	.size	__hip_cuid_e1baf18d6d9d6408, 1

	.ident	"AMD clang version 22.0.0git (https://github.com/RadeonOpenCompute/llvm-project roc-7.2.4 26084 f58b06dce1f9c15707c5f808fd002e18c2accf7e)"
	.section	".note.GNU-stack","",@progbits
	.addrsig
	.addrsig_sym __hip_cuid_e1baf18d6d9d6408
	.amdgpu_metadata
---
amdhsa.kernels:
  - .args:
      - .offset:         0
        .size:           8
        .value_kind:     by_value
      - .address_space:  global
        .offset:         8
        .size:           8
        .value_kind:     global_buffer
      - .address_space:  global
        .offset:         16
        .size:           8
        .value_kind:     global_buffer
      - .address_space:  global
        .offset:         24
        .size:           8
        .value_kind:     global_buffer
    .group_segment_fixed_size: 6144
    .kernarg_segment_align: 8
    .kernarg_segment_size: 32
    .language:       OpenCL C
    .language_version:
      - 2
      - 0
    .max_flat_workgroup_size: 256
    .name:           _ZN8rajaperf5basic14mat_mat_sharedILl16EEEvlPdS2_S2_
    .private_segment_fixed_size: 0
    .sgpr_count:     17
    .sgpr_spill_count: 0
    .symbol:         _ZN8rajaperf5basic14mat_mat_sharedILl16EEEvlPdS2_S2_.kd
    .uniform_work_group_size: 1
    .uses_dynamic_stack: false
    .vgpr_count:     32
    .vgpr_spill_count: 0
    .wavefront_size: 32
  - .args:
      - .offset:         0
        .size:           48
        .value_kind:     by_value
    .group_segment_fixed_size: 6144
    .kernarg_segment_align: 8
    .kernarg_segment_size: 48
    .language:       OpenCL C
    .language_version:
      - 2
      - 0
    .max_flat_workgroup_size: 256
    .name:           _ZN8rajaperf10lambda_hipILm256EZNS_5basic14MAT_MAT_SHARED17runHipVariantImplILm256EEEvNS_9VariantIDEEUlvE_EEvT0_
    .private_segment_fixed_size: 0
    .sgpr_count:     20
    .sgpr_spill_count: 0
    .symbol:         _ZN8rajaperf10lambda_hipILm256EZNS_5basic14MAT_MAT_SHARED17runHipVariantImplILm256EEEvNS_9VariantIDEEUlvE_EEvT0_.kd
    .uniform_work_group_size: 1
    .uses_dynamic_stack: false
    .vgpr_count:     32
    .vgpr_spill_count: 0
    .wavefront_size: 32
  - .args:
      - .offset:         0
        .size:           48
        .value_kind:     by_value
      - .offset:         48
        .size:           1
        .value_kind:     by_value
    .group_segment_fixed_size: 6144
    .kernarg_segment_align: 8
    .kernarg_segment_size: 52
    .language:       OpenCL C
    .language_version:
      - 2
      - 0
    .max_flat_workgroup_size: 256
    .name:           _ZN4RAJA34launch_new_reduce_global_fcn_fixedIZN8rajaperf5basic14MAT_MAT_SHARED17runHipVariantImplILm256EEEvNS1_9VariantIDEEUlNS_14LaunchContextTINS_3hip33LaunchContextIndicesAndDimsPolicyINS7_14IndicesAndDimsILb0ELb0ELb0ELb0EEEEEEEE_Li256ENS_4expt15ForallParamPackIJEEEEEvT_T1_
    .private_segment_fixed_size: 0
    .sgpr_count:     20
    .sgpr_spill_count: 0
    .symbol:         _ZN4RAJA34launch_new_reduce_global_fcn_fixedIZN8rajaperf5basic14MAT_MAT_SHARED17runHipVariantImplILm256EEEvNS1_9VariantIDEEUlNS_14LaunchContextTINS_3hip33LaunchContextIndicesAndDimsPolicyINS7_14IndicesAndDimsILb0ELb0ELb0ELb0EEEEEEEE_Li256ENS_4expt15ForallParamPackIJEEEEEvT_T1_.kd
    .uniform_work_group_size: 1
    .uses_dynamic_stack: false
    .vgpr_count:     32
    .vgpr_spill_count: 0
    .wavefront_size: 32
amdhsa.target:   amdgcn-amd-amdhsa--gfx1250
amdhsa.version:
  - 1
  - 2
...

	.end_amdgpu_metadata
